;; amdgpu-corpus repo=llvm/llvm-project kind=harvested arch=n/a opt=n/a
// NOTE: Assertions have been autogenerated by utils/update_mc_test_checks.py UTC_ARGS: --unique --sort --version 5
// RUN: llvm-mc -triple=amdgcn -mcpu=gfx1170 -mattr=+real-true16 -show-encoding %s 2>&1 | FileCheck --check-prefixes=GFX1170 --implicit-check-not=_e32 %s
// RUN: llvm-mc -triple=amdgcn -mcpu=gfx1170 -mattr=+real-true16 -show-encoding %s | %extract-encodings | llvm-mc -triple=amdgcn -mcpu=gfx1170 -mattr=+real-true16 -disassemble -show-encoding | FileCheck --strict-whitespace --check-prefixes=GFX1170 --implicit-check-not=_e32 %s

v_max_num_f16 v255.h, v1.h, v2.h
// GFX1170: v_max_num_f16_e64 v255.h, v1.h, v2.h op_sel:[1,1,1] ; encoding: [0xff,0x58,0x39,0xd5,0x01,0x05,0x02,0x02]

v_max_num_f16 v255.h, v1.h, v2.h dpp8:[7,6,5,4,3,2,1,0]
// GFX1170: v_max_num_f16_e64_dpp v255.h, v1.h, v2.h op_sel:[1,1,1] dpp8:[7,6,5,4,3,2,1,0] ; encoding: [0xff,0x58,0x39,0xd5,0xe9,0x04,0x02,0x00,0x01,0x77,0x39,0x05]

v_max_num_f16 v255.h, v1.h, v2.h quad_perm:[3,2,1,0]
// GFX1170: v_max_num_f16_e64_dpp v255.h, v1.h, v2.h op_sel:[1,1,1] quad_perm:[3,2,1,0] row_mask:0xf bank_mask:0xf ; encoding: [0xff,0x58,0x39,0xd5,0xfa,0x04,0x02,0x00,0x01,0x1b,0x00,0xff]

v_max_num_f16 v255.l, v1.l, v2.l
// GFX1170: v_max_num_f16_e64 v255.l, v1.l, v2.l    ; encoding: [0xff,0x00,0x39,0xd5,0x01,0x05,0x02,0x02]

v_max_num_f16 v255.l, v1.l, v2.l dpp8:[7,6,5,4,3,2,1,0]
// GFX1170: v_max_num_f16_e64_dpp v255.l, v1.l, v2.l dpp8:[7,6,5,4,3,2,1,0] ; encoding: [0xff,0x00,0x39,0xd5,0xe9,0x04,0x02,0x00,0x01,0x77,0x39,0x05]

v_max_num_f16 v255.l, v1.l, v2.l quad_perm:[3,2,1,0]
// GFX1170: v_max_num_f16_e64_dpp v255.l, v1.l, v2.l quad_perm:[3,2,1,0] row_mask:0xf bank_mask:0xf ; encoding: [0xff,0x00,0x39,0xd5,0xfa,0x04,0x02,0x00,0x01,0x1b,0x00,0xff]

v_max_num_f16 v5.h, v1.h, v255.h
// GFX1170: v_max_num_f16_e64 v5.h, v1.h, v255.h op_sel:[1,1,1] ; encoding: [0x05,0x58,0x39,0xd5,0x01,0xff,0x03,0x02]

v_max_num_f16 v5.h, v1.h, v255.h dpp8:[7,6,5,4,3,2,1,0]
// GFX1170: v_max_num_f16_e64_dpp v5.h, v1.h, v255.h op_sel:[1,1,1] dpp8:[7,6,5,4,3,2,1,0] ; encoding: [0x05,0x58,0x39,0xd5,0xe9,0xfe,0x03,0x00,0x01,0x77,0x39,0x05]

v_max_num_f16 v5.h, v1.h, v255.h quad_perm:[3,2,1,0]
// GFX1170: v_max_num_f16_e64_dpp v5.h, v1.h, v255.h op_sel:[1,1,1] quad_perm:[3,2,1,0] row_mask:0xf bank_mask:0xf ; encoding: [0x05,0x58,0x39,0xd5,0xfa,0xfe,0x03,0x00,0x01,0x1b,0x00,0xff]

v_max_num_f16 v5.h, v255.h, v2.h
// GFX1170: v_max_num_f16_e64 v5.h, v255.h, v2.h op_sel:[1,1,1] ; encoding: [0x05,0x58,0x39,0xd5,0xff,0x05,0x02,0x02]

v_max_num_f16 v5.h, v255.h, v2.h dpp8:[7,6,5,4,3,2,1,0]
// GFX1170: v_max_num_f16_e64_dpp v5.h, v255.h, v2.h op_sel:[1,1,1] dpp8:[7,6,5,4,3,2,1,0] ; encoding: [0x05,0x58,0x39,0xd5,0xe9,0x04,0x02,0x00,0xff,0x77,0x39,0x05]

v_max_num_f16 v5.h, v255.h, v2.h quad_perm:[3,2,1,0]
// GFX1170: v_max_num_f16_e64_dpp v5.h, v255.h, v2.h op_sel:[1,1,1] quad_perm:[3,2,1,0] row_mask:0xf bank_mask:0xf ; encoding: [0x05,0x58,0x39,0xd5,0xfa,0x04,0x02,0x00,0xff,0x1b,0x00,0xff]

v_max_num_f16 v5.l, v1.l, v255.l
// GFX1170: v_max_num_f16_e64 v5.l, v1.l, v255.l    ; encoding: [0x05,0x00,0x39,0xd5,0x01,0xff,0x03,0x02]

v_max_num_f16 v5.l, v1.l, v255.l dpp8:[7,6,5,4,3,2,1,0]
// GFX1170: v_max_num_f16_e64_dpp v5.l, v1.l, v255.l dpp8:[7,6,5,4,3,2,1,0] ; encoding: [0x05,0x00,0x39,0xd5,0xe9,0xfe,0x03,0x00,0x01,0x77,0x39,0x05]

v_max_num_f16 v5.l, v1.l, v255.l quad_perm:[3,2,1,0]
// GFX1170: v_max_num_f16_e64_dpp v5.l, v1.l, v255.l quad_perm:[3,2,1,0] row_mask:0xf bank_mask:0xf ; encoding: [0x05,0x00,0x39,0xd5,0xfa,0xfe,0x03,0x00,0x01,0x1b,0x00,0xff]

v_max_num_f16 v5.l, v255.l, v2.l
// GFX1170: v_max_num_f16_e64 v5.l, v255.l, v2.l    ; encoding: [0x05,0x00,0x39,0xd5,0xff,0x05,0x02,0x02]

v_max_num_f16 v5.l, v255.l, v2.l dpp8:[7,6,5,4,3,2,1,0]
// GFX1170: v_max_num_f16_e64_dpp v5.l, v255.l, v2.l dpp8:[7,6,5,4,3,2,1,0] ; encoding: [0x05,0x00,0x39,0xd5,0xe9,0x04,0x02,0x00,0xff,0x77,0x39,0x05]

v_max_num_f16 v5.l, v255.l, v2.l quad_perm:[3,2,1,0]
// GFX1170: v_max_num_f16_e64_dpp v5.l, v255.l, v2.l quad_perm:[3,2,1,0] row_mask:0xf bank_mask:0xf ; encoding: [0x05,0x00,0x39,0xd5,0xfa,0x04,0x02,0x00,0xff,0x1b,0x00,0xff]

v_min_num_f16 v255.h, v1.h, v2.h
// GFX1170: v_min_num_f16_e64 v255.h, v1.h, v2.h op_sel:[1,1,1] ; encoding: [0xff,0x58,0x3a,0xd5,0x01,0x05,0x02,0x02]

v_min_num_f16 v255.h, v1.h, v2.h dpp8:[7,6,5,4,3,2,1,0]
// GFX1170: v_min_num_f16_e64_dpp v255.h, v1.h, v2.h op_sel:[1,1,1] dpp8:[7,6,5,4,3,2,1,0] ; encoding: [0xff,0x58,0x3a,0xd5,0xe9,0x04,0x02,0x00,0x01,0x77,0x39,0x05]

v_min_num_f16 v255.h, v1.h, v2.h quad_perm:[3,2,1,0]
// GFX1170: v_min_num_f16_e64_dpp v255.h, v1.h, v2.h op_sel:[1,1,1] quad_perm:[3,2,1,0] row_mask:0xf bank_mask:0xf ; encoding: [0xff,0x58,0x3a,0xd5,0xfa,0x04,0x02,0x00,0x01,0x1b,0x00,0xff]

v_min_num_f16 v255.l, v1.l, v2.l
// GFX1170: v_min_num_f16_e64 v255.l, v1.l, v2.l    ; encoding: [0xff,0x00,0x3a,0xd5,0x01,0x05,0x02,0x02]

v_min_num_f16 v255.l, v1.l, v2.l dpp8:[7,6,5,4,3,2,1,0]
// GFX1170: v_min_num_f16_e64_dpp v255.l, v1.l, v2.l dpp8:[7,6,5,4,3,2,1,0] ; encoding: [0xff,0x00,0x3a,0xd5,0xe9,0x04,0x02,0x00,0x01,0x77,0x39,0x05]

v_min_num_f16 v255.l, v1.l, v2.l quad_perm:[3,2,1,0]
// GFX1170: v_min_num_f16_e64_dpp v255.l, v1.l, v2.l quad_perm:[3,2,1,0] row_mask:0xf bank_mask:0xf ; encoding: [0xff,0x00,0x3a,0xd5,0xfa,0x04,0x02,0x00,0x01,0x1b,0x00,0xff]

v_min_num_f16 v5.h, v1.h, v255.h
// GFX1170: v_min_num_f16_e64 v5.h, v1.h, v255.h op_sel:[1,1,1] ; encoding: [0x05,0x58,0x3a,0xd5,0x01,0xff,0x03,0x02]

v_min_num_f16 v5.h, v1.h, v255.h dpp8:[7,6,5,4,3,2,1,0]
// GFX1170: v_min_num_f16_e64_dpp v5.h, v1.h, v255.h op_sel:[1,1,1] dpp8:[7,6,5,4,3,2,1,0] ; encoding: [0x05,0x58,0x3a,0xd5,0xe9,0xfe,0x03,0x00,0x01,0x77,0x39,0x05]

v_min_num_f16 v5.h, v1.h, v255.h quad_perm:[3,2,1,0]
// GFX1170: v_min_num_f16_e64_dpp v5.h, v1.h, v255.h op_sel:[1,1,1] quad_perm:[3,2,1,0] row_mask:0xf bank_mask:0xf ; encoding: [0x05,0x58,0x3a,0xd5,0xfa,0xfe,0x03,0x00,0x01,0x1b,0x00,0xff]

v_min_num_f16 v5.h, v255.h, v2.h
// GFX1170: v_min_num_f16_e64 v5.h, v255.h, v2.h op_sel:[1,1,1] ; encoding: [0x05,0x58,0x3a,0xd5,0xff,0x05,0x02,0x02]

v_min_num_f16 v5.h, v255.h, v2.h dpp8:[7,6,5,4,3,2,1,0]
// GFX1170: v_min_num_f16_e64_dpp v5.h, v255.h, v2.h op_sel:[1,1,1] dpp8:[7,6,5,4,3,2,1,0] ; encoding: [0x05,0x58,0x3a,0xd5,0xe9,0x04,0x02,0x00,0xff,0x77,0x39,0x05]

v_min_num_f16 v5.h, v255.h, v2.h quad_perm:[3,2,1,0]
// GFX1170: v_min_num_f16_e64_dpp v5.h, v255.h, v2.h op_sel:[1,1,1] quad_perm:[3,2,1,0] row_mask:0xf bank_mask:0xf ; encoding: [0x05,0x58,0x3a,0xd5,0xfa,0x04,0x02,0x00,0xff,0x1b,0x00,0xff]

v_min_num_f16 v5.l, v1.l, v255.l
// GFX1170: v_min_num_f16_e64 v5.l, v1.l, v255.l    ; encoding: [0x05,0x00,0x3a,0xd5,0x01,0xff,0x03,0x02]

v_min_num_f16 v5.l, v1.l, v255.l dpp8:[7,6,5,4,3,2,1,0]
// GFX1170: v_min_num_f16_e64_dpp v5.l, v1.l, v255.l dpp8:[7,6,5,4,3,2,1,0] ; encoding: [0x05,0x00,0x3a,0xd5,0xe9,0xfe,0x03,0x00,0x01,0x77,0x39,0x05]

v_min_num_f16 v5.l, v1.l, v255.l quad_perm:[3,2,1,0]
// GFX1170: v_min_num_f16_e64_dpp v5.l, v1.l, v255.l quad_perm:[3,2,1,0] row_mask:0xf bank_mask:0xf ; encoding: [0x05,0x00,0x3a,0xd5,0xfa,0xfe,0x03,0x00,0x01,0x1b,0x00,0xff]

v_min_num_f16 v5.l, v255.l, v2.l
// GFX1170: v_min_num_f16_e64 v5.l, v255.l, v2.l    ; encoding: [0x05,0x00,0x3a,0xd5,0xff,0x05,0x02,0x02]

v_min_num_f16 v5.l, v255.l, v2.l dpp8:[7,6,5,4,3,2,1,0]
// GFX1170: v_min_num_f16_e64_dpp v5.l, v255.l, v2.l dpp8:[7,6,5,4,3,2,1,0] ; encoding: [0x05,0x00,0x3a,0xd5,0xe9,0x04,0x02,0x00,0xff,0x77,0x39,0x05]

v_min_num_f16 v5.l, v255.l, v2.l quad_perm:[3,2,1,0]
// GFX1170: v_min_num_f16_e64_dpp v5.l, v255.l, v2.l quad_perm:[3,2,1,0] row_mask:0xf bank_mask:0xf ; encoding: [0x05,0x00,0x3a,0xd5,0xfa,0x04,0x02,0x00,0xff,0x1b,0x00,0xff]
